;; amdgpu-corpus repo=ROCm/rocFFT kind=compiled arch=gfx950 opt=O3
	.text
	.amdgcn_target "amdgcn-amd-amdhsa--gfx950"
	.amdhsa_code_object_version 6
	.protected	fft_rtc_back_len1600_factors_10_16_10_wgs_200_tpt_100_halfLds_half_op_CI_CI_unitstride_sbrr_C2R_dirReg ; -- Begin function fft_rtc_back_len1600_factors_10_16_10_wgs_200_tpt_100_halfLds_half_op_CI_CI_unitstride_sbrr_C2R_dirReg
	.globl	fft_rtc_back_len1600_factors_10_16_10_wgs_200_tpt_100_halfLds_half_op_CI_CI_unitstride_sbrr_C2R_dirReg
	.p2align	8
	.type	fft_rtc_back_len1600_factors_10_16_10_wgs_200_tpt_100_halfLds_half_op_CI_CI_unitstride_sbrr_C2R_dirReg,@function
fft_rtc_back_len1600_factors_10_16_10_wgs_200_tpt_100_halfLds_half_op_CI_CI_unitstride_sbrr_C2R_dirReg: ; @fft_rtc_back_len1600_factors_10_16_10_wgs_200_tpt_100_halfLds_half_op_CI_CI_unitstride_sbrr_C2R_dirReg
; %bb.0:
	s_load_dwordx4 s[4:7], s[0:1], 0x58
	s_load_dwordx4 s[8:11], s[0:1], 0x0
	;; [unrolled: 1-line block ×3, first 2 shown]
	v_mul_u32_u24_e32 v1, 0x290, v0
	v_lshrrev_b32_e32 v1, 16, v1
	v_lshl_add_u32 v10, s2, 1, v1
	v_mov_b32_e32 v6, 0
	s_waitcnt lgkmcnt(0)
	v_cmp_lt_u64_e64 s[2:3], s[10:11], 2
	v_mov_b32_e32 v11, v6
	s_and_b64 vcc, exec, s[2:3]
	v_mov_b64_e32 v[8:9], 0
	s_cbranch_vccnz .LBB0_8
; %bb.1:
	s_load_dwordx2 s[2:3], s[0:1], 0x10
	s_add_u32 s16, s14, 8
	s_addc_u32 s17, s15, 0
	s_add_u32 s18, s12, 8
	s_addc_u32 s19, s13, 0
	s_waitcnt lgkmcnt(0)
	s_add_u32 s20, s2, 8
	v_mov_b64_e32 v[8:9], 0
	s_addc_u32 s21, s3, 0
	s_mov_b64 s[22:23], 1
	v_mov_b64_e32 v[2:3], v[8:9]
.LBB0_2:                                ; =>This Inner Loop Header: Depth=1
	s_load_dwordx2 s[24:25], s[20:21], 0x0
                                        ; implicit-def: $vgpr4_vgpr5
	s_waitcnt lgkmcnt(0)
	v_or_b32_e32 v7, s25, v11
	v_cmp_ne_u64_e32 vcc, 0, v[6:7]
	s_and_saveexec_b64 s[2:3], vcc
	s_xor_b64 s[26:27], exec, s[2:3]
	s_cbranch_execz .LBB0_4
; %bb.3:                                ;   in Loop: Header=BB0_2 Depth=1
	v_cvt_f32_u32_e32 v4, s24
	v_cvt_f32_u32_e32 v5, s25
	s_sub_u32 s2, 0, s24
	s_subb_u32 s3, 0, s25
	v_fmac_f32_e32 v4, 0x4f800000, v5
	v_rcp_f32_e32 v4, v4
	s_nop 0
	v_mul_f32_e32 v4, 0x5f7ffffc, v4
	v_mul_f32_e32 v5, 0x2f800000, v4
	v_trunc_f32_e32 v5, v5
	v_fmac_f32_e32 v4, 0xcf800000, v5
	v_cvt_u32_f32_e32 v7, v5
	v_cvt_u32_f32_e32 v14, v4
	v_mul_lo_u32 v4, s2, v7
	v_mul_hi_u32 v12, s2, v14
	v_mul_lo_u32 v5, s3, v14
	v_add_u32_e32 v12, v12, v4
	v_mul_lo_u32 v15, s2, v14
	v_add_u32_e32 v16, v12, v5
	v_mul_hi_u32 v4, v14, v15
	v_mul_hi_u32 v13, v14, v16
	v_mul_lo_u32 v12, v14, v16
	v_mov_b32_e32 v5, v6
	v_lshl_add_u64 v[4:5], v[4:5], 0, v[12:13]
	v_mul_hi_u32 v13, v7, v15
	v_mul_lo_u32 v15, v7, v15
	v_add_co_u32_e32 v4, vcc, v4, v15
	v_mul_hi_u32 v12, v7, v16
	s_nop 0
	v_addc_co_u32_e32 v4, vcc, v5, v13, vcc
	v_mov_b32_e32 v5, v6
	s_nop 0
	v_addc_co_u32_e32 v13, vcc, 0, v12, vcc
	v_mul_lo_u32 v12, v7, v16
	v_lshl_add_u64 v[4:5], v[4:5], 0, v[12:13]
	v_add_co_u32_e32 v14, vcc, v14, v4
	v_mul_lo_u32 v12, s2, v14
	s_nop 0
	v_addc_co_u32_e32 v7, vcc, v7, v5, vcc
	v_mul_lo_u32 v4, s2, v7
	v_mul_hi_u32 v5, s2, v14
	v_add_u32_e32 v4, v5, v4
	v_mul_lo_u32 v5, s3, v14
	v_add_u32_e32 v15, v4, v5
	v_mul_hi_u32 v17, v7, v12
	v_mul_lo_u32 v18, v7, v12
	v_mul_hi_u32 v5, v14, v15
	v_mul_lo_u32 v4, v14, v15
	v_mul_hi_u32 v12, v14, v12
	v_mov_b32_e32 v13, v6
	v_lshl_add_u64 v[4:5], v[12:13], 0, v[4:5]
	v_add_co_u32_e32 v4, vcc, v4, v18
	v_mul_hi_u32 v16, v7, v15
	s_nop 0
	v_addc_co_u32_e32 v4, vcc, v5, v17, vcc
	v_mul_lo_u32 v12, v7, v15
	s_nop 0
	v_addc_co_u32_e32 v13, vcc, 0, v16, vcc
	v_mov_b32_e32 v5, v6
	v_lshl_add_u64 v[4:5], v[4:5], 0, v[12:13]
	v_add_co_u32_e32 v14, vcc, v14, v4
	v_mul_hi_u32 v12, v10, v14
	s_nop 0
	v_addc_co_u32_e32 v7, vcc, v7, v5, vcc
	v_mad_u64_u32 v[4:5], s[2:3], v10, v7, 0
	v_mov_b32_e32 v13, v6
	v_lshl_add_u64 v[4:5], v[12:13], 0, v[4:5]
	v_mad_u64_u32 v[14:15], s[2:3], v11, v14, 0
	v_add_co_u32_e32 v4, vcc, v4, v14
	v_mad_u64_u32 v[12:13], s[2:3], v11, v7, 0
	s_nop 0
	v_addc_co_u32_e32 v4, vcc, v5, v15, vcc
	v_mov_b32_e32 v5, v6
	s_nop 0
	v_addc_co_u32_e32 v13, vcc, 0, v13, vcc
	v_lshl_add_u64 v[4:5], v[4:5], 0, v[12:13]
	v_mul_lo_u32 v7, s25, v4
	v_mul_lo_u32 v14, s24, v5
	v_mad_u64_u32 v[12:13], s[2:3], s24, v4, 0
	v_add3_u32 v7, v13, v14, v7
	v_sub_u32_e32 v13, v11, v7
	v_mov_b32_e32 v14, s25
	v_sub_co_u32_e32 v16, vcc, v10, v12
	s_nop 1
	v_subb_co_u32_e64 v12, s[2:3], v13, v14, vcc
	v_subrev_co_u32_e64 v13, s[2:3], s24, v16
	v_subb_co_u32_e32 v7, vcc, v11, v7, vcc
	s_nop 0
	v_subbrev_co_u32_e64 v12, s[2:3], 0, v12, s[2:3]
	v_cmp_le_u32_e64 s[2:3], s25, v12
	v_cmp_le_u32_e32 vcc, s25, v7
	s_nop 0
	v_cndmask_b32_e64 v14, 0, -1, s[2:3]
	v_cmp_le_u32_e64 s[2:3], s24, v13
	s_nop 1
	v_cndmask_b32_e64 v13, 0, -1, s[2:3]
	v_cmp_eq_u32_e64 s[2:3], s25, v12
	s_nop 1
	v_cndmask_b32_e64 v17, v14, v13, s[2:3]
	v_lshl_add_u64 v[12:13], v[4:5], 0, 2
	v_lshl_add_u64 v[14:15], v[4:5], 0, 1
	v_cmp_ne_u32_e64 s[2:3], 0, v17
	s_nop 1
	v_cndmask_b32_e64 v13, v15, v13, s[2:3]
	v_cndmask_b32_e64 v15, 0, -1, vcc
	v_cmp_le_u32_e32 vcc, s24, v16
	s_nop 1
	v_cndmask_b32_e64 v16, 0, -1, vcc
	v_cmp_eq_u32_e32 vcc, s25, v7
	s_nop 1
	v_cndmask_b32_e32 v7, v15, v16, vcc
	v_cmp_ne_u32_e32 vcc, 0, v7
	v_cndmask_b32_e64 v7, v14, v12, s[2:3]
	s_nop 0
	v_cndmask_b32_e32 v5, v5, v13, vcc
	v_cndmask_b32_e32 v4, v4, v7, vcc
.LBB0_4:                                ;   in Loop: Header=BB0_2 Depth=1
	s_andn2_saveexec_b64 s[2:3], s[26:27]
	s_cbranch_execz .LBB0_6
; %bb.5:                                ;   in Loop: Header=BB0_2 Depth=1
	v_cvt_f32_u32_e32 v4, s24
	s_sub_i32 s26, 0, s24
	v_rcp_iflag_f32_e32 v4, v4
	s_nop 0
	v_mul_f32_e32 v4, 0x4f7ffffe, v4
	v_cvt_u32_f32_e32 v4, v4
	v_mul_lo_u32 v5, s26, v4
	v_mul_hi_u32 v5, v4, v5
	v_add_u32_e32 v4, v4, v5
	v_mul_hi_u32 v4, v10, v4
	v_mul_lo_u32 v5, v4, s24
	v_sub_u32_e32 v5, v10, v5
	v_add_u32_e32 v7, 1, v4
	v_subrev_u32_e32 v12, s24, v5
	v_cmp_le_u32_e32 vcc, s24, v5
	s_nop 1
	v_cndmask_b32_e32 v5, v5, v12, vcc
	v_cndmask_b32_e32 v4, v4, v7, vcc
	v_add_u32_e32 v7, 1, v4
	v_cmp_le_u32_e32 vcc, s24, v5
	v_mov_b32_e32 v5, v6
	s_nop 0
	v_cndmask_b32_e32 v4, v4, v7, vcc
.LBB0_6:                                ;   in Loop: Header=BB0_2 Depth=1
	s_or_b64 exec, exec, s[2:3]
	v_mad_u64_u32 v[12:13], s[2:3], v4, s24, 0
	s_load_dwordx2 s[2:3], s[18:19], 0x0
	v_mul_lo_u32 v7, v5, s24
	v_mul_lo_u32 v14, v4, s25
	s_load_dwordx2 s[24:25], s[16:17], 0x0
	s_add_u32 s22, s22, 1
	v_add3_u32 v7, v13, v14, v7
	v_sub_co_u32_e32 v10, vcc, v10, v12
	s_addc_u32 s23, s23, 0
	s_nop 0
	v_subb_co_u32_e32 v7, vcc, v11, v7, vcc
	s_add_u32 s16, s16, 8
	s_waitcnt lgkmcnt(0)
	v_mul_lo_u32 v11, s2, v7
	v_mul_lo_u32 v12, s3, v10
	v_mad_u64_u32 v[8:9], s[2:3], s2, v10, v[8:9]
	s_addc_u32 s17, s17, 0
	v_add3_u32 v9, v12, v9, v11
	v_mul_lo_u32 v7, s24, v7
	v_mul_lo_u32 v11, s25, v10
	v_mad_u64_u32 v[2:3], s[2:3], s24, v10, v[2:3]
	s_add_u32 s18, s18, 8
	v_add3_u32 v3, v11, v3, v7
	s_addc_u32 s19, s19, 0
	v_mov_b64_e32 v[10:11], s[10:11]
	s_add_u32 s20, s20, 8
	v_cmp_ge_u64_e32 vcc, s[22:23], v[10:11]
	s_addc_u32 s21, s21, 0
	s_cbranch_vccnz .LBB0_9
; %bb.7:                                ;   in Loop: Header=BB0_2 Depth=1
	v_mov_b64_e32 v[10:11], v[4:5]
	s_branch .LBB0_2
.LBB0_8:
	v_mov_b64_e32 v[2:3], v[8:9]
	v_mov_b64_e32 v[4:5], v[10:11]
.LBB0_9:
	s_load_dwordx2 s[2:3], s[0:1], 0x28
	s_lshl_b64 s[16:17], s[10:11], 3
	s_add_u32 s14, s14, s16
	v_and_b32_e32 v1, 1, v1
	s_addc_u32 s15, s15, s17
	v_cmp_eq_u32_e32 vcc, 1, v1
	v_mov_b32_e32 v1, 0x641
	s_waitcnt lgkmcnt(0)
	v_cmp_gt_u64_e64 s[0:1], s[2:3], v[4:5]
	v_cmp_le_u64_e64 s[2:3], s[2:3], v[4:5]
                                        ; implicit-def: $vgpr6
	s_and_saveexec_b64 s[10:11], s[2:3]
	s_xor_b64 s[2:3], exec, s[10:11]
; %bb.10:
	s_mov_b32 s10, 0x28f5c29
	v_mul_hi_u32 v6, v0, s10
	v_mul_u32_u24_e32 v6, 0x64, v6
	v_sub_u32_e32 v6, v0, v6
                                        ; implicit-def: $vgpr0
                                        ; implicit-def: $vgpr8_vgpr9
; %bb.11:
	s_or_saveexec_b64 s[10:11], s[2:3]
	s_load_dwordx2 s[2:3], s[14:15], 0x0
	v_cndmask_b32_e32 v31, 0, v1, vcc
	v_lshlrev_b32_e32 v29, 2, v31
	s_xor_b64 exec, exec, s[10:11]
	s_cbranch_execz .LBB0_15
; %bb.12:
	s_add_u32 s12, s12, s16
	s_addc_u32 s13, s13, s17
	s_load_dwordx2 s[12:13], s[12:13], 0x0
	s_mov_b32 s14, 0x28f5c29
	s_waitcnt lgkmcnt(0)
	v_mul_lo_u32 v1, s13, v4
	v_mul_lo_u32 v6, s12, v5
	v_mad_u64_u32 v[10:11], s[12:13], s12, v4, 0
	v_add3_u32 v11, v11, v6, v1
	v_mul_hi_u32 v1, v0, s14
	v_mul_u32_u24_e32 v1, 0x64, v1
	v_sub_u32_e32 v6, v0, v1
	v_lshl_add_u64 v[0:1], v[10:11], 2, s[4:5]
	v_lshl_add_u64 v[0:1], v[8:9], 2, v[0:1]
	v_lshlrev_b32_e32 v8, 2, v6
	v_mov_b32_e32 v9, 0
	v_lshl_add_u64 v[10:11], v[0:1], 0, v[8:9]
	s_movk_i32 s4, 0x1000
	v_add_co_u32_e32 v12, vcc, s4, v10
	global_load_dword v9, v[10:11], off
	global_load_dword v14, v[10:11], off offset:400
	global_load_dword v15, v[10:11], off offset:800
	;; [unrolled: 1-line block ×7, first 2 shown]
	v_addc_co_u32_e32 v13, vcc, 0, v11, vcc
	global_load_dword v21, v[10:11], off offset:3200
	global_load_dword v22, v[10:11], off offset:3600
	global_load_dword v23, v[10:11], off offset:4000
	global_load_dword v24, v[12:13], off offset:304
	global_load_dword v25, v[12:13], off offset:704
	global_load_dword v26, v[12:13], off offset:1104
	global_load_dword v27, v[12:13], off offset:1504
	global_load_dword v28, v[12:13], off offset:1904
	s_movk_i32 s4, 0x63
	v_add3_u32 v7, 0, v29, v8
	v_cmp_eq_u32_e32 vcc, s4, v6
	v_add_u32_e32 v8, 0x200, v7
	v_add_u32_e32 v10, 0x400, v7
	;; [unrolled: 1-line block ×7, first 2 shown]
	s_waitcnt vmcnt(14)
	ds_write2_b32 v7, v9, v14 offset1:100
	s_waitcnt vmcnt(12)
	ds_write2_b32 v8, v15, v16 offset0:72 offset1:172
	s_waitcnt vmcnt(10)
	ds_write2_b32 v10, v17, v18 offset0:144 offset1:244
	;; [unrolled: 2-line block ×7, first 2 shown]
	s_and_saveexec_b64 s[4:5], vcc
	s_cbranch_execz .LBB0_14
; %bb.13:
	v_add_co_u32_e32 v0, vcc, 0x1000, v0
	v_mov_b32_e32 v6, 0x63
	s_nop 0
	v_addc_co_u32_e32 v1, vcc, 0, v1, vcc
	global_load_dword v0, v[0:1], off offset:2304
	s_waitcnt vmcnt(0)
	ds_write_b32 v7, v0 offset:6004
.LBB0_14:
	s_or_b64 exec, exec, s[4:5]
.LBB0_15:
	s_or_b64 exec, exec, s[10:11]
	v_lshl_add_u32 v28, v31, 2, 0
	v_lshlrev_b32_e32 v8, 2, v6
	v_add_u32_e32 v30, v28, v8
	s_waitcnt lgkmcnt(0)
	s_barrier
	v_sub_u32_e32 v9, v28, v8
	ds_read_u16 v12, v30
	ds_read_u16 v13, v9 offset:6400
	s_add_u32 s4, s8, 0x18d8
	s_addc_u32 s5, s9, 0
	v_cmp_ne_u32_e32 vcc, 0, v6
                                        ; implicit-def: $vgpr0_vgpr1
	s_waitcnt lgkmcnt(0)
	v_add_f16_e32 v10, v13, v12
	v_sub_f16_e32 v11, v12, v13
	s_and_saveexec_b64 s[10:11], vcc
	s_xor_b64 s[10:11], exec, s[10:11]
	s_cbranch_execz .LBB0_17
; %bb.16:
	v_mov_b32_e32 v7, 0
	v_lshl_add_u64 v[0:1], v[6:7], 2, s[4:5]
	global_load_dword v0, v[0:1], off
	ds_read_u16 v1, v9 offset:6402
	ds_read_u16 v10, v30 offset:2
	v_add_f16_e32 v11, v13, v12
	v_sub_f16_e32 v12, v12, v13
	s_waitcnt lgkmcnt(0)
	v_add_f16_e32 v13, v1, v10
	v_sub_f16_e32 v1, v10, v1
	s_waitcnt vmcnt(0)
	v_lshrrev_b32_e32 v10, 16, v0
	v_fma_f16 v14, v12, v10, v11
	v_fma_f16 v15, v13, v10, v1
	v_fma_f16 v16, -v12, v10, v11
	v_fma_f16 v1, v13, v10, -v1
	v_fma_f16 v10, -v0, v13, v14
	v_fma_f16 v11, v12, v0, v15
	v_fma_f16 v13, v0, v13, v16
	;; [unrolled: 1-line block ×3, first 2 shown]
	v_pack_b32_f16 v0, v13, v0
	ds_write_b32 v9, v0 offset:6400
	v_mov_b64_e32 v[0:1], v[6:7]
.LBB0_17:
	s_andn2_saveexec_b64 s[10:11], s[10:11]
	s_cbranch_execz .LBB0_19
; %bb.18:
	ds_read_b32 v0, v28 offset:3200
	s_mov_b32 s12, 0xc0004000
	s_waitcnt lgkmcnt(0)
	v_pk_mul_f16 v0, v0, s12
	ds_write_b32 v28, v0 offset:3200
	v_mov_b64_e32 v[0:1], 0
.LBB0_19:
	s_or_b64 exec, exec, s[10:11]
	v_lshl_add_u64 v[0:1], v[0:1], 2, s[4:5]
	global_load_dword v7, v[0:1], off offset:400
	global_load_dword v12, v[0:1], off offset:800
	;; [unrolled: 1-line block ×4, first 2 shown]
	s_mov_b32 s10, 0x5040100
	v_perm_b32 v10, v11, v10, s10
	ds_write_b32 v30, v10
	ds_read_b32 v10, v30 offset:400
	ds_read_b32 v11, v9 offset:6000
	global_load_dword v15, v[0:1], off offset:2000
	global_load_dword v16, v[0:1], off offset:2400
	global_load_dword v17, v[0:1], off offset:2800
	s_mov_b32 s12, 0xbb9c
	s_movk_i32 s5, 0x3b9c
	s_movk_i32 s4, 0x38b4
	s_waitcnt lgkmcnt(0)
	v_add_f16_e32 v0, v10, v11
	v_add_f16_sdwa v1, v11, v10 dst_sel:DWORD dst_unused:UNUSED_PAD src0_sel:WORD_1 src1_sel:WORD_1
	v_sub_f16_e32 v18, v10, v11
	v_sub_f16_sdwa v10, v10, v11 dst_sel:DWORD dst_unused:UNUSED_PAD src0_sel:WORD_1 src1_sel:WORD_1
	s_movk_i32 s11, 0x34f2
	s_mov_b32 s13, 0xb8b4
	s_movk_i32 s14, 0x3a79
	s_mov_b32 s15, 0xb4f2
	s_mov_b32 s16, 0xba79
	v_cmp_gt_u32_e32 vcc, 60, v6
	s_waitcnt vmcnt(6)
	v_lshrrev_b32_e32 v11, 16, v7
	v_fma_f16 v19, v18, v11, v0
	v_fma_f16 v20, v1, v11, v10
	v_fma_f16 v0, -v18, v11, v0
	v_fma_f16 v10, v1, v11, -v10
	v_fma_f16 v11, -v7, v1, v19
	v_fma_f16 v19, v18, v7, v20
	v_fma_f16 v0, v7, v1, v0
	v_fma_f16 v1, v18, v7, v10
	v_pack_b32_f16 v7, v11, v19
	v_pack_b32_f16 v0, v0, v1
	ds_write_b32 v30, v7 offset:400
	ds_write_b32 v9, v0 offset:6000
	ds_read_b32 v0, v30 offset:800
	ds_read_b32 v1, v9 offset:5600
	s_waitcnt vmcnt(5)
	v_lshrrev_b32_e32 v7, 16, v12
	s_waitcnt lgkmcnt(0)
	v_add_f16_e32 v10, v0, v1
	v_add_f16_sdwa v11, v1, v0 dst_sel:DWORD dst_unused:UNUSED_PAD src0_sel:WORD_1 src1_sel:WORD_1
	v_sub_f16_e32 v18, v0, v1
	v_sub_f16_sdwa v0, v0, v1 dst_sel:DWORD dst_unused:UNUSED_PAD src0_sel:WORD_1 src1_sel:WORD_1
	v_fma_f16 v1, v18, v7, v10
	v_fma_f16 v19, v11, v7, v0
	v_fma_f16 v10, -v18, v7, v10
	v_fma_f16 v0, v11, v7, -v0
	v_fma_f16 v1, -v12, v11, v1
	v_fma_f16 v7, v18, v12, v19
	v_fma_f16 v10, v12, v11, v10
	v_fma_f16 v0, v18, v12, v0
	v_pack_b32_f16 v1, v1, v7
	v_pack_b32_f16 v0, v10, v0
	ds_write_b32 v30, v1 offset:800
	ds_write_b32 v9, v0 offset:5600
	ds_read_b32 v0, v30 offset:1200
	ds_read_b32 v1, v9 offset:5200
	s_waitcnt vmcnt(4)
	v_lshrrev_b32_e32 v7, 16, v13
	s_waitcnt lgkmcnt(0)
	v_add_f16_e32 v10, v0, v1
	v_add_f16_sdwa v11, v1, v0 dst_sel:DWORD dst_unused:UNUSED_PAD src0_sel:WORD_1 src1_sel:WORD_1
	v_sub_f16_e32 v12, v0, v1
	v_sub_f16_sdwa v0, v0, v1 dst_sel:DWORD dst_unused:UNUSED_PAD src0_sel:WORD_1 src1_sel:WORD_1
	;; [unrolled: 21-line block ×6, first 2 shown]
	v_fma_f16 v1, v12, v7, v10
	v_fma_f16 v13, v11, v7, v0
	v_fma_f16 v10, -v12, v7, v10
	v_fma_f16 v0, v11, v7, -v0
	v_fma_f16 v1, -v17, v11, v1
	v_fma_f16 v7, v12, v17, v13
	v_fma_f16 v10, v17, v11, v10
	;; [unrolled: 1-line block ×3, first 2 shown]
	v_pack_b32_f16 v1, v1, v7
	v_pack_b32_f16 v0, v10, v0
	v_add3_u32 v7, 0, v8, v29
	ds_write_b32 v30, v1 offset:2800
	ds_write_b32 v9, v0 offset:3600
	v_add_u32_e32 v35, 0x400, v7
	v_add_u32_e32 v0, 0x800, v7
	s_waitcnt lgkmcnt(0)
	s_barrier
	s_barrier
	ds_read2_b32 v[10:11], v7 offset0:100 offset1:160
	ds_read2_b32 v[14:15], v35 offset0:4 offset1:64
	;; [unrolled: 1-line block ×4, first 2 shown]
	v_add_u32_e32 v32, 0xc00, v7
	v_add_u32_e32 v0, 0x1200, v7
	ds_read2_b32 v[16:17], v32 offset0:132 offset1:192
	ds_read2_b32 v[24:25], v0 offset0:68 offset1:128
	v_add_u32_e32 v36, 0xa00, v7
	v_add_u32_e32 v37, 0x1000, v7
	;; [unrolled: 1-line block ×3, first 2 shown]
	ds_read2_b32 v[12:13], v36 offset0:100 offset1:160
	ds_read2_b32 v[22:23], v37 offset0:36 offset1:96
	;; [unrolled: 1-line block ×3, first 2 shown]
	ds_read_b32 v39, v7 offset:6160
	ds_read_b32 v0, v30
	s_waitcnt lgkmcnt(5)
	v_sub_f16_e32 v34, v25, v17
	v_sub_f16_e32 v41, v15, v21
	v_add_f16_e32 v34, v41, v34
	v_add_f16_e32 v41, v15, v25
	v_sub_f16_sdwa v33, v21, v17 dst_sel:DWORD dst_unused:UNUSED_PAD src0_sel:WORD_1 src1_sel:WORD_1
	s_waitcnt lgkmcnt(0)
	v_fma_f16 v41, v41, -0.5, v0
	v_sub_f16_sdwa v8, v15, v25 dst_sel:DWORD dst_unused:UNUSED_PAD src0_sel:WORD_1 src1_sel:WORD_1
	v_fma_f16 v42, v33, s5, v41
	v_sub_f16_e32 v43, v17, v25
	v_sub_f16_e32 v44, v21, v15
	v_fma_f16 v41, v33, s12, v41
	v_add_f16_e32 v43, v44, v43
	v_fma_f16 v41, v8, s4, v41
	v_fma_f16 v52, v43, s11, v41
	v_pk_add_f16 v41, v0, v15
	v_mul_u32_u24_e32 v1, 10, v6
	v_pk_add_f16 v41, v41, v21
	v_lshl_add_u32 v40, v1, 2, 0
	v_add_f16_e32 v1, v21, v17
	v_fma_f16 v42, v8, s13, v42
	v_pk_add_f16 v41, v41, v17
	v_fma_f16 v1, v1, -0.5, v0
	v_fma_f16 v51, v43, s11, v42
	v_pk_add_f16 v42, v41, v25
	v_add_f16_sdwa v41, v21, v17 dst_sel:DWORD dst_unused:UNUSED_PAD src0_sel:WORD_1 src1_sel:WORD_1
	v_lshrrev_b32_e32 v0, 16, v0
	v_fma_f16 v43, v41, -0.5, v0
	v_sub_f16_e32 v44, v15, v25
	v_fma_f16 v41, v44, s5, v43
	v_sub_f16_e32 v45, v21, v17
	v_sub_f16_sdwa v46, v15, v21 dst_sel:DWORD dst_unused:UNUSED_PAD src0_sel:WORD_1 src1_sel:WORD_1
	v_sub_f16_sdwa v47, v25, v17 dst_sel:DWORD dst_unused:UNUSED_PAD src0_sel:WORD_1 src1_sel:WORD_1
	v_fma_f16 v41, v45, s4, v41
	v_add_f16_e32 v46, v46, v47
	v_fma_f16 v53, v46, s11, v41
	v_add_f16_sdwa v41, v15, v25 dst_sel:DWORD dst_unused:UNUSED_PAD src0_sel:WORD_1 src1_sel:WORD_1
	v_sub_f16_sdwa v15, v21, v15 dst_sel:DWORD dst_unused:UNUSED_PAD src0_sel:WORD_1 src1_sel:WORD_1
	v_sub_f16_sdwa v17, v17, v25 dst_sel:DWORD dst_unused:UNUSED_PAD src0_sel:WORD_1 src1_sel:WORD_1
	v_add_f16_e32 v15, v15, v17
	v_sub_f16_e32 v17, v27, v23
	v_sub_f16_e32 v21, v19, v13
	v_add_f16_e32 v49, v21, v17
	v_pk_add_f16 v17, v11, v19
	v_fma_f16 v0, v41, -0.5, v0
	v_pk_add_f16 v17, v17, v13
	v_fma_f16 v41, v45, s12, v0
	v_fma_f16 v0, v45, s5, v0
	v_pk_add_f16 v17, v17, v23
	v_fma_f16 v0, v44, s13, v0
	v_pk_add_f16 v55, v17, v27
	v_add_f16_sdwa v17, v13, v23 dst_sel:DWORD dst_unused:UNUSED_PAD src0_sel:WORD_1 src1_sel:WORD_1
	v_lshrrev_b32_e32 v21, 16, v11
	v_fma_f16 v41, v44, s4, v41
	v_fma_f16 v54, v15, s11, v0
	v_add_f16_e32 v0, v13, v23
	v_fma_f16 v56, v17, -0.5, v21
	v_sub_f16_e32 v57, v19, v27
	v_fma_f16 v25, v15, s11, v41
	v_fma_f16 v0, v0, -0.5, v11
	v_sub_f16_sdwa v47, v19, v27 dst_sel:DWORD dst_unused:UNUSED_PAD src0_sel:WORD_1 src1_sel:WORD_1
	v_fma_f16 v17, v57, s5, v56
	v_sub_f16_e32 v58, v13, v23
	v_sub_f16_sdwa v41, v19, v13 dst_sel:DWORD dst_unused:UNUSED_PAD src0_sel:WORD_1 src1_sel:WORD_1
	v_sub_f16_sdwa v59, v27, v23 dst_sel:DWORD dst_unused:UNUSED_PAD src0_sel:WORD_1 src1_sel:WORD_1
	v_fma_f16 v15, v47, s12, v0
	v_sub_f16_sdwa v48, v13, v23 dst_sel:DWORD dst_unused:UNUSED_PAD src0_sel:WORD_1 src1_sel:WORD_1
	v_fma_f16 v17, v58, s4, v17
	v_add_f16_e32 v59, v41, v59
	v_fma_f16 v15, v48, s13, v15
	v_fma_f16 v17, v59, s11, v17
	;; [unrolled: 1-line block ×4, first 2 shown]
	v_mul_f16_e32 v41, 0xb8b4, v17
	v_fma_f16 v9, v33, s13, v9
	v_fma_f16 v60, v15, s14, v41
	v_mul_f16_e32 v15, 0x38b4, v15
	v_fma_f16 v9, v34, s11, v9
	v_fma_f16 v61, v17, s14, v15
	v_add_f16_e32 v41, v9, v60
	v_add_f16_e32 v15, v53, v61
	v_add_u32_e32 v50, v40, v29
	v_pack_b32_f16 v15, v41, v15
	v_pk_add_f16 v17, v42, v55
	s_barrier
	ds_write2_b32 v50, v17, v15 offset1:1
	v_sub_f16_e32 v15, v23, v27
	v_sub_f16_e32 v17, v13, v19
	v_add_f16_e32 v15, v17, v15
	v_add_f16_e32 v17, v19, v27
	v_fma_f16 v11, v17, -0.5, v11
	v_fma_f16 v17, v48, s5, v11
	v_fma_f16 v11, v48, s12, v11
	;; [unrolled: 1-line block ×6, first 2 shown]
	v_add_f16_sdwa v15, v19, v27 dst_sel:DWORD dst_unused:UNUSED_PAD src0_sel:WORD_1 src1_sel:WORD_1
	v_fma_f16 v15, v15, -0.5, v21
	v_sub_f16_sdwa v13, v13, v19 dst_sel:DWORD dst_unused:UNUSED_PAD src0_sel:WORD_1 src1_sel:WORD_1
	v_sub_f16_sdwa v19, v23, v27 dst_sel:DWORD dst_unused:UNUSED_PAD src0_sel:WORD_1 src1_sel:WORD_1
	v_add_f16_e32 v13, v13, v19
	v_fma_f16 v19, v58, s12, v15
	v_fma_f16 v19, v57, s4, v19
	;; [unrolled: 1-line block ×6, first 2 shown]
	v_mul_f16_e32 v15, 0xbb9c, v19
	v_fma_f16 v27, v17, s11, v15
	v_mul_f16_e32 v15, 0x34f2, v19
	v_fma_f16 v62, v17, s5, v15
	v_mul_f16_e32 v15, 0xbb9c, v13
	v_mul_f16_e32 v13, 0xb4f2, v13
	v_fma_f16 v63, v11, s15, v15
	v_fma_f16 v64, v11, s5, v13
	v_add_f16_e32 v11, v52, v63
	v_add_f16_e32 v13, v54, v64
	v_pack_b32_f16 v11, v11, v13
	v_add_f16_e32 v13, v51, v27
	v_add_f16_e32 v15, v25, v62
	v_pack_b32_f16 v13, v13, v15
	ds_write2_b32 v50, v13, v11 offset0:2 offset1:3
	v_sub_f16_e32 v11, v26, v22
	v_sub_f16_e32 v13, v18, v12
	v_add_f16_e32 v13, v13, v11
	v_add_f16_e32 v11, v12, v22
	v_fma_f16 v15, v11, -0.5, v10
	v_sub_f16_sdwa v17, v18, v26 dst_sel:DWORD dst_unused:UNUSED_PAD src0_sel:WORD_1 src1_sel:WORD_1
	v_fma_f16 v11, v17, s12, v15
	v_sub_f16_sdwa v19, v12, v22 dst_sel:DWORD dst_unused:UNUSED_PAD src0_sel:WORD_1 src1_sel:WORD_1
	v_fma_f16 v15, v17, s5, v15
	v_fma_f16 v11, v19, s13, v11
	;; [unrolled: 1-line block ×5, first 2 shown]
	v_sub_f16_e32 v15, v22, v26
	v_sub_f16_e32 v21, v12, v18
	v_add_f16_e32 v21, v21, v15
	v_add_f16_e32 v15, v18, v26
	v_fma_f16 v15, v15, -0.5, v10
	v_fma_f16 v23, v19, s5, v15
	v_fma_f16 v15, v19, s12, v15
	;; [unrolled: 1-line block ×6, first 2 shown]
	v_sub_f16_sdwa v19, v18, v12 dst_sel:DWORD dst_unused:UNUSED_PAD src0_sel:WORD_1 src1_sel:WORD_1
	v_sub_f16_sdwa v21, v26, v22 dst_sel:DWORD dst_unused:UNUSED_PAD src0_sel:WORD_1 src1_sel:WORD_1
	v_add_f16_e32 v21, v19, v21
	v_add_f16_sdwa v19, v12, v22 dst_sel:DWORD dst_unused:UNUSED_PAD src0_sel:WORD_1 src1_sel:WORD_1
	v_lshrrev_b32_e32 v23, 16, v10
	v_fma_f16 v41, v19, -0.5, v23
	v_sub_f16_e32 v65, v18, v26
	v_fma_f16 v19, v65, s5, v41
	v_sub_f16_e32 v66, v12, v22
	v_fma_f16 v41, v65, s12, v41
	v_fma_f16 v19, v66, s4, v19
	;; [unrolled: 1-line block ×5, first 2 shown]
	v_add_f16_sdwa v41, v18, v26 dst_sel:DWORD dst_unused:UNUSED_PAD src0_sel:WORD_1 src1_sel:WORD_1
	v_fma_f16 v1, v8, s5, v1
	v_fma_f16 v23, v41, -0.5, v23
	v_sub_f16_sdwa v41, v12, v18 dst_sel:DWORD dst_unused:UNUSED_PAD src0_sel:WORD_1 src1_sel:WORD_1
	v_sub_f16_sdwa v67, v22, v26 dst_sel:DWORD dst_unused:UNUSED_PAD src0_sel:WORD_1 src1_sel:WORD_1
	v_fma_f16 v1, v33, s4, v1
	v_add_f16_e32 v41, v41, v67
	v_fma_f16 v67, v66, s12, v23
	v_fma_f16 v23, v66, s5, v23
	;; [unrolled: 1-line block ×16, first 2 shown]
	v_mul_f16_e32 v43, 0xb8b4, v1
	v_mul_f16_e32 v1, 0xba79, v1
	v_fma_f16 v56, v0, s16, v43
	v_fma_f16 v57, v0, s4, v1
	v_add_f16_e32 v0, v33, v56
	v_pk_add_f16 v1, v42, v55 neg_lo:[0,1] neg_hi:[0,1]
	v_add_f16_e32 v42, v65, v57
	v_add_f16_e32 v8, v16, v24
	v_pack_b32_f16 v0, v0, v42
	v_fma_f16 v8, v8, -0.5, v14
	v_sub_f16_sdwa v34, v20, v39 dst_sel:DWORD dst_unused:UNUSED_PAD src0_sel:WORD_1 src1_sel:WORD_1
	ds_write2_b32 v50, v0, v1 offset0:4 offset1:5
	v_sub_f16_e32 v0, v39, v24
	v_sub_f16_e32 v1, v20, v16
	v_fma_f16 v42, v34, s12, v8
	v_add_f16_e32 v0, v1, v0
	v_sub_f16_sdwa v1, v16, v24 dst_sel:DWORD dst_unused:UNUSED_PAD src0_sel:WORD_1 src1_sel:WORD_1
	v_fma_f16 v8, v34, s5, v8
	v_fma_f16 v42, v1, s13, v42
	v_fma_f16 v8, v1, s4, v8
	v_fma_f16 v43, v0, s11, v42
	v_fma_f16 v0, v0, s11, v8
	v_sub_f16_e32 v8, v24, v39
	v_sub_f16_e32 v42, v16, v20
	v_add_f16_e32 v8, v42, v8
	v_add_f16_e32 v42, v20, v39
	v_fma_f16 v42, v42, -0.5, v14
	v_fma_f16 v44, v1, s5, v42
	v_fma_f16 v1, v1, s12, v42
	;; [unrolled: 1-line block ×6, first 2 shown]
	v_sub_f16_sdwa v8, v20, v16 dst_sel:DWORD dst_unused:UNUSED_PAD src0_sel:WORD_1 src1_sel:WORD_1
	v_sub_f16_sdwa v42, v39, v24 dst_sel:DWORD dst_unused:UNUSED_PAD src0_sel:WORD_1 src1_sel:WORD_1
	v_add_f16_e32 v8, v8, v42
	v_add_f16_sdwa v42, v16, v24 dst_sel:DWORD dst_unused:UNUSED_PAD src0_sel:WORD_1 src1_sel:WORD_1
	v_lshrrev_b32_e32 v44, 16, v14
	v_fma_f16 v42, v42, -0.5, v44
	v_sub_f16_e32 v45, v20, v39
	v_fma_f16 v46, v45, s5, v42
	v_sub_f16_e32 v47, v16, v24
	v_fma_f16 v42, v45, s12, v42
	v_fma_f16 v46, v47, s4, v46
	;; [unrolled: 1-line block ×5, first 2 shown]
	v_add_f16_sdwa v42, v20, v39 dst_sel:DWORD dst_unused:UNUSED_PAD src0_sel:WORD_1 src1_sel:WORD_1
	v_fma_f16 v42, v42, -0.5, v44
	v_sub_f16_sdwa v44, v16, v20 dst_sel:DWORD dst_unused:UNUSED_PAD src0_sel:WORD_1 src1_sel:WORD_1
	v_sub_f16_sdwa v48, v24, v39 dst_sel:DWORD dst_unused:UNUSED_PAD src0_sel:WORD_1 src1_sel:WORD_1
	v_add_f16_e32 v44, v44, v48
	v_fma_f16 v48, v47, s12, v42
	v_fma_f16 v42, v47, s5, v42
	;; [unrolled: 1-line block ×6, first 2 shown]
	v_mul_f16_e32 v42, 0xb8b4, v46
	v_fma_f16 v42, v43, s14, v42
	v_mul_f16_e32 v43, 0x38b4, v43
	v_fma_f16 v44, v46, s14, v43
	v_mul_f16_e32 v43, 0xbb9c, v45
	v_mul_f16_e32 v45, 0x34f2, v45
	v_fma_f16 v43, v34, s11, v43
	v_fma_f16 v46, v34, s5, v45
	v_mul_f16_e32 v34, 0xbb9c, v47
	v_fma_f16 v45, v1, s15, v34
	v_mul_f16_e32 v34, 0xb4f2, v47
	v_fma_f16 v48, v1, s5, v34
	v_mul_f16_e32 v1, 0xb8b4, v8
	v_fma_f16 v47, v0, s16, v1
	v_mul_f16_e32 v1, 0xba79, v8
	v_fma_f16 v49, v0, s4, v1
	v_sub_f16_e32 v8, v9, v60
	v_sub_f16_e32 v0, v51, v27
	;; [unrolled: 1-line block ×4, first 2 shown]
	v_pack_b32_f16 v25, v0, v1
	v_pack_b32_f16 v8, v8, v9
	v_sub_f16_e32 v51, v52, v63
	v_sub_f16_e32 v52, v33, v56
	;; [unrolled: 1-line block ×6, first 2 shown]
	ds_write2_b32 v50, v8, v25 offset0:6 offset1:7
	v_sub_f16_e32 v8, v17, v45
	v_sub_f16_e32 v9, v13, v47
	;; [unrolled: 1-line block ×6, first 2 shown]
	v_pack_b32_f16 v52, v52, v54
	v_pack_b32_f16 v51, v51, v53
	ds_write2_b32 v50, v51, v52 offset0:8 offset1:9
	s_and_saveexec_b64 s[4:5], vcc
	s_cbranch_execz .LBB0_21
; %bb.20:
	v_pk_add_f16 v10, v10, v18
	v_pk_add_f16 v14, v14, v20
	v_pk_add_f16 v10, v10, v12
	v_pk_add_f16 v12, v14, v16
	v_pk_add_f16 v10, v10, v22
	v_pk_add_f16 v12, v12, v24
	v_add_f16_e32 v18, v21, v49
	v_add_f16_e32 v21, v23, v46
	;; [unrolled: 1-line block ×4, first 2 shown]
	v_lshl_add_u32 v23, v31, 2, v40
	v_pk_add_f16 v10, v10, v26
	v_pk_add_f16 v12, v12, v39
	v_add_f16_e32 v20, v41, v48
	v_add_f16_e32 v17, v17, v45
	;; [unrolled: 1-line block ×3, first 2 shown]
	v_add_u32_e32 v31, 0xfa0, v23
	v_pk_add_f16 v14, v10, v12
	v_pack_b32_f16 v11, v11, v19
	v_add_f16_e32 v13, v13, v47
	ds_write2_b32 v31, v14, v11 offset1:1
	v_add_u32_e32 v11, 0xfa8, v23
	v_pack_b32_f16 v14, v17, v20
	v_pack_b32_f16 v15, v15, v21
	ds_write2_b32 v11, v15, v14 offset1:1
	v_add_u32_e32 v11, 0xfb0, v23
	v_pk_add_f16 v10, v10, v12 neg_lo:[0,1] neg_hi:[0,1]
	v_pack_b32_f16 v12, v13, v18
	ds_write2_b32 v11, v12, v10 offset1:1
	v_add_u32_e32 v10, 0xfb8, v23
	v_perm_b32 v11, v25, v1, s10
	v_perm_b32 v12, v27, v0, s10
	ds_write2_b32 v10, v12, v11 offset1:1
	v_add_u32_e32 v10, 0xfc0, v23
	v_perm_b32 v11, v33, v9, s10
	v_perm_b32 v12, v34, v8, s10
	ds_write2_b32 v10, v12, v11 offset1:1
.LBB0_21:
	s_or_b64 exec, exec, s[4:5]
	s_movk_i32 s4, 0xcd
	v_mul_lo_u16_sdwa v10, v6, s4 dst_sel:DWORD dst_unused:UNUSED_PAD src0_sel:BYTE_0 src1_sel:DWORD
	v_lshrrev_b16_e32 v52, 11, v10
	v_mul_lo_u16_e32 v10, 10, v52
	v_sub_u16_e32 v53, v6, v10
	v_mov_b32_e32 v10, 15
	v_mul_u32_u24_sdwa v10, v53, v10 dst_sel:DWORD dst_unused:UNUSED_PAD src0_sel:BYTE_0 src1_sel:DWORD
	v_lshlrev_b32_e32 v26, 2, v10
	s_waitcnt lgkmcnt(0)
	s_barrier
	global_load_dwordx4 v[10:13], v26, s[8:9]
	global_load_dwordx4 v[14:17], v26, s[8:9] offset:16
	global_load_dwordx4 v[18:21], v26, s[8:9] offset:32
	global_load_dwordx3 v[22:24], v26, s[8:9] offset:48
	ds_read2_b32 v[40:41], v7 offset0:100 offset1:200
	ds_read2_b32 v[42:43], v35 offset0:44 offset1:144
	v_add_u32_e32 v39, 0x600, v7
	ds_read2_b32 v[44:45], v36 offset0:60 offset1:160
	ds_read2_b32 v[46:47], v32 offset0:132 offset1:232
	ds_read2_b32 v[36:37], v37 offset0:76 offset1:176
	ds_read2_b32 v[48:49], v38 offset0:20 offset1:120
	ds_read_b32 v26, v30
	ds_read_b32 v31, v7 offset:6000
	ds_read2_b32 v[50:51], v39 offset0:116 offset1:216
	s_waitcnt lgkmcnt(6)
	v_lshrrev_b32_e32 v38, 16, v44
	v_lshrrev_b32_e32 v54, 16, v45
	s_waitcnt lgkmcnt(5)
	v_lshrrev_b32_e32 v55, 16, v46
	v_lshrrev_b32_e32 v56, 16, v47
	;; [unrolled: 3-line block ×4, first 2 shown]
	v_lshrrev_b32_e32 v58, 16, v37
	s_waitcnt lgkmcnt(0)
	v_lshrrev_b32_e32 v63, 16, v50
	v_lshrrev_b32_e32 v64, 16, v51
	;; [unrolled: 1-line block ×4, first 2 shown]
	s_mov_b32 s4, 0xb9a8
	s_movk_i32 s5, 0x39a8
	s_mov_b32 s10, 0xbb64
	s_movk_i32 s11, 0x361f
	;; [unrolled: 2-line block ×3, first 2 shown]
	s_barrier
	s_waitcnt vmcnt(3)
	v_pk_mul_f16 v67, v11, v41
	s_waitcnt vmcnt(2)
	v_mul_f16_sdwa v76, v38, v16 dst_sel:DWORD dst_unused:UNUSED_PAD src0_sel:DWORD src1_sel:WORD_1
	v_mul_f16_sdwa v77, v44, v16 dst_sel:DWORD dst_unused:UNUSED_PAD src0_sel:DWORD src1_sel:WORD_1
	;; [unrolled: 1-line block ×3, first 2 shown]
	s_waitcnt vmcnt(1)
	v_mul_f16_sdwa v80, v55, v18 dst_sel:DWORD dst_unused:UNUSED_PAD src0_sel:DWORD src1_sel:WORD_1
	v_mul_f16_sdwa v82, v56, v19 dst_sel:DWORD dst_unused:UNUSED_PAD src0_sel:DWORD src1_sel:WORD_1
	;; [unrolled: 1-line block ×5, first 2 shown]
	v_fma_f16 v44, v44, v16, v76
	v_fma_f16 v16, v38, v16, -v77
	v_fma_f16 v38, v45, v17, v78
	v_fma_f16 v45, v46, v18, v80
	v_fma_f16 v46, v47, v19, v82
	s_waitcnt vmcnt(0)
	v_mul_f16_sdwa v47, v59, v22 dst_sel:DWORD dst_unused:UNUSED_PAD src0_sel:DWORD src1_sel:WORD_1
	v_fma_f16 v47, v48, v22, v47
	v_mul_f16_sdwa v48, v48, v22 dst_sel:DWORD dst_unused:UNUSED_PAD src0_sel:DWORD src1_sel:WORD_1
	v_fma_f16 v22, v59, v22, -v48
	v_mul_f16_sdwa v48, v60, v23 dst_sel:DWORD dst_unused:UNUSED_PAD src0_sel:DWORD src1_sel:WORD_1
	v_fma_f16 v48, v49, v23, v48
	v_mul_f16_sdwa v49, v49, v23 dst_sel:DWORD dst_unused:UNUSED_PAD src0_sel:DWORD src1_sel:WORD_1
	v_fma_f16 v23, v60, v23, -v49
	v_mul_f16_sdwa v49, v61, v24 dst_sel:DWORD dst_unused:UNUSED_PAD src0_sel:DWORD src1_sel:WORD_1
	v_mul_f16_sdwa v68, v11, v41 dst_sel:DWORD dst_unused:UNUSED_PAD src0_sel:DWORD src1_sel:WORD_1
	v_lshrrev_b32_e32 v11, 16, v11
	v_mul_f16_e32 v69, v12, v42
	v_lshrrev_b32_e32 v70, 16, v12
	v_pk_mul_f16 v12, v12, v42 op_sel:[0,1] op_sel_hi:[1,0]
	v_mul_f16_sdwa v42, v35, v13 dst_sel:DWORD dst_unused:UNUSED_PAD src0_sel:DWORD src1_sel:WORD_1
	v_mul_f16_sdwa v71, v43, v13 dst_sel:DWORD dst_unused:UNUSED_PAD src0_sel:DWORD src1_sel:WORD_1
	v_mul_f16_sdwa v72, v63, v14 dst_sel:DWORD dst_unused:UNUSED_PAD src0_sel:DWORD src1_sel:WORD_1
	v_mul_f16_sdwa v74, v64, v15 dst_sel:DWORD dst_unused:UNUSED_PAD src0_sel:DWORD src1_sel:WORD_1
	v_mul_f16_sdwa v75, v51, v15 dst_sel:DWORD dst_unused:UNUSED_PAD src0_sel:DWORD src1_sel:WORD_1
	v_mul_f16_sdwa v86, v58, v21 dst_sel:DWORD dst_unused:UNUSED_PAD src0_sel:DWORD src1_sel:WORD_1
	v_mul_f16_sdwa v87, v37, v21 dst_sel:DWORD dst_unused:UNUSED_PAD src0_sel:DWORD src1_sel:WORD_1
	v_fma_f16 v49, v31, v24, v49
	v_mul_f16_sdwa v31, v31, v24 dst_sel:DWORD dst_unused:UNUSED_PAD src0_sel:DWORD src1_sel:WORD_1
	v_mul_f16_sdwa v73, v50, v14 dst_sel:DWORD dst_unused:UNUSED_PAD src0_sel:DWORD src1_sel:WORD_1
	v_fma_f16 v42, v43, v13, v42
	v_fma_f16 v13, v35, v13, -v71
	v_fma_f16 v11, -v11, v41, v68
	v_add_f16_sdwa v41, v67, v67 dst_sel:DWORD dst_unused:UNUSED_PAD src0_sel:DWORD src1_sel:WORD_1
	v_fma_f16 v43, v50, v14, v72
	v_fma_f16 v50, v51, v15, v74
	v_fma_f16 v15, v64, v15, -v75
	v_fma_f16 v17, v54, v17, -v79
	v_fma_f16 v19, v56, v19, -v83
	v_fma_f16 v37, v37, v21, v86
	v_fma_f16 v21, v58, v21, -v87
	v_fma_f16 v24, v61, v24, -v31
	v_lshrrev_b32_e32 v31, 16, v26
	v_sub_f16_e32 v38, v26, v38
	v_sub_f16_e32 v17, v31, v17
	;; [unrolled: 1-line block ×8, first 2 shown]
	v_fma_f16 v26, v26, 2.0, -v38
	v_fma_f16 v31, v31, 2.0, -v17
	;; [unrolled: 1-line block ×8, first 2 shown]
	v_pk_mul_f16 v65, v10, v40
	v_mul_f16_sdwa v66, v10, v40 dst_sel:DWORD dst_unused:UNUSED_PAD src0_sel:DWORD src1_sel:WORD_1
	v_lshrrev_b32_e32 v10, 16, v10
	v_mul_f16_sdwa v84, v57, v20 dst_sel:DWORD dst_unused:UNUSED_PAD src0_sel:DWORD src1_sel:WORD_1
	v_sub_f16_e32 v42, v26, v42
	v_sub_f16_e32 v13, v31, v13
	v_sub_f16_e32 v50, v41, v50
	v_sub_f16_e32 v15, v11, v15
	v_mul_f16_sdwa v85, v36, v20 dst_sel:DWORD dst_unused:UNUSED_PAD src0_sel:DWORD src1_sel:WORD_1
	v_fma_f16 v10, -v10, v40, v66
	v_fma_f16 v35, v70, v62, v69
	v_add_f16_sdwa v40, v65, v65 dst_sel:DWORD dst_unused:UNUSED_PAD src0_sel:DWORD src1_sel:WORD_1
	v_fma_f16 v36, v36, v20, v84
	v_fma_f16 v26, v26, 2.0, -v42
	v_fma_f16 v31, v31, 2.0, -v13
	v_add_f16_e32 v21, v38, v21
	v_fma_f16 v41, v41, 2.0, -v50
	v_fma_f16 v11, v11, 2.0, -v15
	v_add_f16_e32 v23, v46, v23
	v_sub_f16_sdwa v12, v12, v12 dst_sel:DWORD dst_unused:UNUSED_PAD src0_sel:DWORD src1_sel:WORD_1
	v_fma_f16 v14, v63, v14, -v73
	v_fma_f16 v18, v55, v18, -v81
	;; [unrolled: 1-line block ×3, first 2 shown]
	v_sub_f16_e32 v45, v40, v45
	v_sub_f16_e32 v47, v43, v47
	;; [unrolled: 1-line block ×5, first 2 shown]
	v_fma_f16 v38, v38, 2.0, -v21
	v_sub_f16_e32 v48, v19, v48
	v_fma_f16 v46, v46, 2.0, -v23
	v_sub_f16_e32 v41, v26, v41
	v_sub_f16_e32 v51, v31, v11
	;; [unrolled: 1-line block ×3, first 2 shown]
	v_fma_f16 v40, v40, 2.0, -v45
	v_sub_f16_e32 v22, v14, v22
	v_fma_f16 v43, v43, 2.0, -v47
	v_sub_f16_e32 v20, v12, v20
	;; [unrolled: 2-line block ×3, first 2 shown]
	v_fma_f16 v44, v44, 2.0, -v49
	v_fma_f16 v17, v17, 2.0, -v37
	v_fma_f16 v19, v19, 2.0, -v48
	v_fma_f16 v11, v26, 2.0, -v41
	v_fma_f16 v26, v31, 2.0, -v51
	v_fma_f16 v31, v46, s4, v38
	v_fma_f16 v10, v10, 2.0, -v18
	v_fma_f16 v14, v14, 2.0, -v22
	;; [unrolled: 1-line block ×4, first 2 shown]
	v_sub_f16_e32 v43, v40, v43
	v_add_f16_e32 v22, v45, v22
	v_sub_f16_e32 v47, v18, v47
	v_sub_f16_e32 v44, v35, v44
	v_add_f16_e32 v24, v36, v24
	v_sub_f16_e32 v49, v20, v49
	v_fma_f16 v54, v19, s4, v17
	v_fma_f16 v19, v19, s5, v31
	v_sub_f16_e32 v14, v10, v14
	v_fma_f16 v40, v40, 2.0, -v43
	v_fma_f16 v45, v45, 2.0, -v22
	;; [unrolled: 1-line block ×3, first 2 shown]
	v_sub_f16_e32 v16, v12, v16
	v_fma_f16 v35, v35, 2.0, -v44
	v_fma_f16 v36, v36, 2.0, -v24
	;; [unrolled: 1-line block ×3, first 2 shown]
	v_fma_f16 v46, v46, s4, v54
	v_fma_f16 v31, v38, 2.0, -v19
	v_sub_f16_e32 v38, v13, v50
	v_fma_f16 v50, v23, s5, v21
	v_fma_f16 v54, v48, s5, v37
	v_fma_f16 v10, v10, 2.0, -v14
	v_fma_f16 v12, v12, 2.0, -v16
	v_fma_f16 v48, v48, s5, v50
	v_fma_f16 v23, v23, s4, v54
	v_sub_f16_e32 v35, v40, v35
	v_fma_f16 v50, v36, s4, v45
	v_fma_f16 v54, v20, s4, v18
	v_sub_f16_e32 v12, v10, v12
	v_fma_f16 v40, v40, 2.0, -v35
	v_fma_f16 v20, v20, s5, v50
	v_fma_f16 v36, v36, s4, v54
	v_fma_f16 v17, v17, 2.0, -v46
	v_add_f16_e32 v15, v42, v15
	v_fma_f16 v10, v10, 2.0, -v12
	v_fma_f16 v45, v45, 2.0, -v20
	;; [unrolled: 1-line block ×3, first 2 shown]
	v_add_f16_e32 v16, v43, v16
	v_sub_f16_e32 v44, v14, v44
	v_fma_f16 v50, v24, s5, v22
	v_fma_f16 v54, v49, s5, v47
	v_sub_f16_e32 v40, v11, v40
	v_fma_f16 v42, v42, 2.0, -v15
	v_fma_f16 v13, v13, 2.0, -v38
	;; [unrolled: 1-line block ×4, first 2 shown]
	v_fma_f16 v49, v49, s5, v50
	v_fma_f16 v50, v24, s4, v54
	v_sub_f16_e32 v54, v26, v10
	v_fma_f16 v55, v11, 2.0, -v40
	v_fma_f16 v10, v45, s10, v31
	v_fma_f16 v11, v18, s10, v17
	;; [unrolled: 1-line block ×6, first 2 shown]
	v_fma_f16 v37, v37, 2.0, -v23
	v_fma_f16 v47, v47, 2.0, -v50
	v_fma_f16 v10, v14, s5, v10
	v_fma_f16 v24, v43, s4, v11
	;; [unrolled: 1-line block ×3, first 2 shown]
	v_fma_f16 v22, v22, 2.0, -v49
	v_fma_f16 v57, v31, 2.0, -v18
	;; [unrolled: 1-line block ×3, first 2 shown]
	v_fma_f16 v13, v47, s12, v37
	v_fma_f16 v31, v20, s10, v14
	v_fma_f16 v21, v21, 2.0, -v48
	v_fma_f16 v56, v26, 2.0, -v54
	v_fma_f16 v26, v22, s10, v13
	v_fma_f16 v13, v20, s11, v19
	v_fma_f16 v20, v46, 2.0, -v31
	v_mul_u32_u24_e32 v46, 0xa0, v52
	v_fma_f16 v11, v22, s12, v21
	v_fma_f16 v14, v16, s5, v15
	v_or_b32_sdwa v46, v46, v53 dst_sel:DWORD dst_unused:UNUSED_PAD src0_sel:DWORD src1_sel:BYTE_0
	v_fma_f16 v17, v17, 2.0, -v45
	v_fma_f16 v11, v47, s13, v11
	v_fma_f16 v13, v36, s13, v13
	v_fma_f16 v36, v44, s5, v38
	v_fma_f16 v14, v44, s5, v14
	v_lshlrev_b32_e32 v46, 2, v46
	v_fma_f16 v42, v42, 2.0, -v10
	v_fma_f16 v21, v21, 2.0, -v11
	v_fma_f16 v22, v37, 2.0, -v26
	v_add_f16_e32 v12, v41, v12
	v_sub_f16_e32 v35, v51, v35
	v_fma_f16 v37, v16, s4, v36
	v_fma_f16 v16, v15, 2.0, -v14
	v_fma_f16 v15, v49, s13, v48
	v_fma_f16 v36, v50, s13, v23
	v_add3_u32 v29, 0, v46, v29
	v_pack_b32_f16 v46, v55, v56
	v_pack_b32_f16 v17, v57, v17
	v_fma_f16 v41, v41, 2.0, -v12
	v_fma_f16 v47, v51, 2.0, -v35
	;; [unrolled: 1-line block ×3, first 2 shown]
	v_fma_f16 v15, v50, s11, v15
	v_fma_f16 v36, v49, s12, v36
	ds_write2_b32 v29, v46, v17 offset1:10
	v_pack_b32_f16 v17, v42, v43
	v_pack_b32_f16 v21, v21, v22
	v_fma_f16 v38, v38, 2.0, -v37
	v_fma_f16 v44, v48, 2.0, -v15
	v_fma_f16 v23, v23, 2.0, -v36
	ds_write2_b32 v29, v17, v21 offset0:20 offset1:30
	v_pack_b32_f16 v17, v41, v47
	v_pack_b32_f16 v19, v19, v20
	ds_write2_b32 v29, v17, v19 offset0:40 offset1:50
	v_pack_b32_f16 v16, v16, v38
	v_pack_b32_f16 v17, v44, v23
	;; [unrolled: 3-line block ×6, first 2 shown]
	ds_write2_b32 v29, v16, v17 offset0:140 offset1:150
	v_add_u32_e32 v16, 0x200, v7
	s_waitcnt lgkmcnt(0)
	s_barrier
	ds_read2_b32 v[20:21], v16 offset0:32 offset1:192
	v_add_u32_e32 v16, 0x700, v7
	v_add_u32_e32 v18, 0x1100, v7
	ds_read2_b32 v[22:23], v16 offset0:32 offset1:192
	ds_read2_b32 v[16:17], v32 offset0:32 offset1:192
	;; [unrolled: 1-line block ×3, first 2 shown]
	ds_read_b32 v29, v30
	ds_read_b32 v30, v7 offset:5760
	s_and_saveexec_b64 s[4:5], vcc
	s_cbranch_execz .LBB0_23
; %bb.22:
	v_add_u32_e32 v0, 0x100, v7
	ds_read2_b32 v[10:11], v0 offset0:36 offset1:196
	v_add_u32_e32 v0, 0xb00, v7
	ds_read2_b32 v[14:15], v0 offset0:36 offset1:196
	v_add_u32_e32 v0, 0x1000, v7
	v_add_u32_e32 v8, 0x1500, v7
	ds_read2_b32 v[12:13], v39 offset0:36 offset1:196
	ds_read2_b32 v[0:1], v0 offset0:36 offset1:196
	;; [unrolled: 1-line block ×3, first 2 shown]
	s_waitcnt lgkmcnt(4)
	v_lshrrev_b32_e32 v24, 16, v10
	v_lshrrev_b32_e32 v26, 16, v11
	s_waitcnt lgkmcnt(2)
	v_lshrrev_b32_e32 v35, 16, v12
	v_lshrrev_b32_e32 v31, 16, v13
	;; [unrolled: 1-line block ×4, first 2 shown]
	s_waitcnt lgkmcnt(1)
	v_lshrrev_b32_e32 v27, 16, v0
	v_lshrrev_b32_e32 v25, 16, v1
	s_waitcnt lgkmcnt(0)
	v_lshrrev_b32_e32 v34, 16, v8
	v_lshrrev_b32_e32 v33, 16, v9
.LBB0_23:
	s_or_b64 exec, exec, s[4:5]
	v_mul_u32_u24_e32 v32, 9, v6
	v_lshlrev_b32_e32 v32, 2, v32
	global_load_dwordx4 v[38:41], v32, s[8:9] offset:600
	global_load_dwordx4 v[42:45], v32, s[8:9] offset:616
	global_load_dword v46, v32, s[8:9] offset:632
	s_waitcnt lgkmcnt(3)
	v_lshrrev_b32_e32 v50, 16, v17
	v_lshrrev_b32_e32 v52, 16, v23
	s_waitcnt lgkmcnt(2)
	v_lshrrev_b32_e32 v48, 16, v19
	v_lshrrev_b32_e32 v54, 16, v21
	;; [unrolled: 3-line block ×3, first 2 shown]
	v_lshrrev_b32_e32 v51, 16, v16
	v_lshrrev_b32_e32 v53, 16, v22
	;; [unrolled: 1-line block ×4, first 2 shown]
	s_mov_b32 s10, 0xbb9c
	s_movk_i32 s13, 0x3b9c
	s_mov_b32 s11, 0xb8b4
	s_movk_i32 s14, 0x38b4
	s_movk_i32 s12, 0x34f2
	;; [unrolled: 1-line block ×3, first 2 shown]
	s_mov_b32 s16, 0xb4f2
	s_mov_b32 s17, 0xba79
	s_barrier
	s_waitcnt vmcnt(2)
	v_mul_f16_sdwa v62, v41, v52 dst_sel:DWORD dst_unused:UNUSED_PAD src0_sel:WORD_1 src1_sel:DWORD
	s_waitcnt vmcnt(1)
	v_mul_f16_sdwa v66, v43, v50 dst_sel:DWORD dst_unused:UNUSED_PAD src0_sel:WORD_1 src1_sel:DWORD
	v_mul_f16_sdwa v58, v39, v54 dst_sel:DWORD dst_unused:UNUSED_PAD src0_sel:WORD_1 src1_sel:DWORD
	;; [unrolled: 1-line block ×7, first 2 shown]
	v_fma_f16 v23, v41, v23, v62
	v_fma_f16 v17, v43, v17, v66
	v_mul_f16_sdwa v56, v38, v55 dst_sel:DWORD dst_unused:UNUSED_PAD src0_sel:WORD_1 src1_sel:DWORD
	v_mul_f16_sdwa v57, v38, v20 dst_sel:DWORD dst_unused:UNUSED_PAD src0_sel:WORD_1 src1_sel:DWORD
	;; [unrolled: 1-line block ×8, first 2 shown]
	s_waitcnt vmcnt(0)
	v_mul_f16_sdwa v72, v47, v46 dst_sel:DWORD dst_unused:UNUSED_PAD src0_sel:DWORD src1_sel:WORD_1
	v_mul_f16_sdwa v73, v30, v46 dst_sel:DWORD dst_unused:UNUSED_PAD src0_sel:DWORD src1_sel:WORD_1
	v_fma_f16 v21, v39, v21, v58
	v_fma_f16 v39, v39, v54, -v59
	v_fma_f16 v19, v45, v19, v70
	v_fma_f16 v45, v45, v48, -v71
	v_add_f16_e32 v48, v23, v17
	v_fma_f16 v20, v38, v20, v56
	v_fma_f16 v38, v38, v55, -v57
	v_fma_f16 v22, v40, v22, v60
	v_fma_f16 v40, v40, v53, -v61
	v_fma_f16 v41, v41, v52, -v63
	v_fma_f16 v16, v42, v16, v64
	v_fma_f16 v42, v42, v51, -v65
	;; [unrolled: 3-line block ×3, first 2 shown]
	v_fma_f16 v30, v30, v46, v72
	v_fma_f16 v46, v47, v46, -v73
	v_add_f16_e32 v47, v29, v21
	v_sub_f16_e32 v49, v39, v45
	v_sub_f16_e32 v51, v21, v23
	v_sub_f16_e32 v52, v19, v17
	v_add_f16_e32 v53, v21, v19
	v_sub_f16_e32 v54, v23, v21
	v_sub_f16_e32 v55, v17, v19
	v_add_f16_e32 v56, v32, v39
	v_fma_f16 v48, v48, -0.5, v29
	v_sub_f16_e32 v50, v41, v43
	v_add_f16_e32 v47, v47, v23
	v_add_f16_e32 v51, v51, v52
	v_fma_f16 v29, v53, -0.5, v29
	v_add_f16_e32 v52, v54, v55
	v_add_f16_e32 v53, v56, v41
	v_fma_f16 v54, v49, s10, v48
	v_fma_f16 v48, v49, s13, v48
	v_add_f16_e32 v57, v41, v43
	v_add_f16_e32 v47, v47, v17
	v_fma_f16 v55, v50, s13, v29
	v_fma_f16 v29, v50, s10, v29
	v_add_f16_e32 v53, v53, v43
	v_fma_f16 v54, v50, s11, v54
	v_fma_f16 v48, v50, s14, v48
	;; [unrolled: 3-line block ×4, first 2 shown]
	v_fma_f16 v51, v57, -0.5, v32
	v_sub_f16_e32 v19, v21, v19
	v_fma_f16 v50, v52, s12, v50
	v_fma_f16 v29, v52, s12, v29
	v_fma_f16 v21, v19, s13, v51
	v_sub_f16_e32 v17, v23, v17
	v_sub_f16_e32 v23, v39, v41
	;; [unrolled: 1-line block ×3, first 2 shown]
	v_fma_f16 v51, v19, s10, v51
	v_fma_f16 v21, v17, s14, v21
	v_add_f16_e32 v23, v23, v52
	v_fma_f16 v51, v17, s11, v51
	v_fma_f16 v21, v23, s12, v21
	;; [unrolled: 1-line block ×3, first 2 shown]
	v_add_f16_e32 v51, v39, v45
	v_fma_f16 v32, v51, -0.5, v32
	v_fma_f16 v51, v17, s10, v32
	v_sub_f16_e32 v39, v41, v39
	v_sub_f16_e32 v41, v43, v45
	v_fma_f16 v17, v17, s13, v32
	v_fma_f16 v51, v19, s14, v51
	v_add_f16_e32 v39, v39, v41
	v_fma_f16 v17, v19, s11, v17
	v_add_f16_e32 v32, v16, v18
	v_fma_f16 v41, v39, s12, v51
	v_fma_f16 v17, v39, s12, v17
	v_fma_f16 v32, v32, -0.5, v20
	v_sub_f16_e32 v39, v40, v46
	v_fma_f16 v43, v39, s10, v32
	v_sub_f16_e32 v45, v42, v44
	v_sub_f16_e32 v51, v22, v16
	;; [unrolled: 1-line block ×3, first 2 shown]
	v_fma_f16 v32, v39, s13, v32
	v_fma_f16 v43, v45, s11, v43
	v_add_f16_e32 v51, v51, v52
	v_fma_f16 v32, v45, s14, v32
	v_fma_f16 v43, v51, s12, v43
	;; [unrolled: 1-line block ×3, first 2 shown]
	v_add_f16_e32 v51, v22, v30
	v_add_f16_e32 v19, v20, v22
	v_fma_f16 v20, v51, -0.5, v20
	v_add_f16_e32 v19, v19, v16
	v_fma_f16 v51, v45, s13, v20
	v_fma_f16 v20, v45, s10, v20
	v_add_f16_e32 v45, v42, v44
	v_add_f16_e32 v19, v19, v18
	v_sub_f16_e32 v52, v16, v22
	v_sub_f16_e32 v54, v18, v30
	v_fma_f16 v45, v45, -0.5, v38
	v_sub_f16_e32 v22, v22, v30
	v_add_f16_e32 v19, v19, v30
	v_fma_f16 v51, v39, s11, v51
	v_add_f16_e32 v52, v52, v54
	v_fma_f16 v20, v39, s14, v20
	v_fma_f16 v30, v22, s13, v45
	v_sub_f16_e32 v16, v16, v18
	v_fma_f16 v51, v52, s12, v51
	v_fma_f16 v20, v52, s12, v20
	;; [unrolled: 1-line block ×3, first 2 shown]
	v_sub_f16_e32 v30, v40, v42
	v_sub_f16_e32 v52, v46, v44
	v_fma_f16 v45, v22, s10, v45
	v_add_f16_e32 v30, v30, v52
	v_fma_f16 v45, v16, s11, v45
	v_fma_f16 v18, v30, s12, v18
	;; [unrolled: 1-line block ×3, first 2 shown]
	v_add_f16_e32 v45, v40, v46
	v_add_f16_e32 v39, v38, v40
	v_fma_f16 v38, v45, -0.5, v38
	v_add_f16_e32 v39, v39, v42
	v_fma_f16 v45, v16, s10, v38
	v_sub_f16_e32 v40, v42, v40
	v_sub_f16_e32 v42, v44, v46
	v_fma_f16 v16, v16, s13, v38
	v_fma_f16 v45, v22, s14, v45
	v_add_f16_e32 v40, v40, v42
	v_fma_f16 v16, v22, s11, v16
	v_add_f16_e32 v39, v39, v44
	v_fma_f16 v42, v40, s12, v45
	v_fma_f16 v16, v40, s12, v16
	v_mul_f16_e32 v38, 0xb8b4, v18
	v_mul_f16_e32 v18, 0x3a79, v18
	v_add_f16_e32 v39, v39, v46
	v_fma_f16 v38, v43, s15, v38
	v_mul_f16_e32 v44, 0xbb9c, v42
	v_mul_f16_e32 v46, 0xbb9c, v16
	;; [unrolled: 1-line block ×3, first 2 shown]
	v_fma_f16 v18, v43, s14, v18
	v_mul_f16_e32 v42, 0x34f2, v42
	v_mul_f16_e32 v16, 0xb4f2, v16
	;; [unrolled: 1-line block ×3, first 2 shown]
	v_add_f16_e32 v22, v47, v19
	v_add_f16_e32 v40, v53, v38
	v_fma_f16 v44, v51, s12, v44
	v_fma_f16 v46, v20, s16, v46
	v_add_f16_e32 v56, v49, v39
	v_add_f16_e32 v43, v21, v18
	v_fma_f16 v42, v51, s13, v42
	v_fma_f16 v16, v20, s13, v16
	;; [unrolled: 1-line block ×3, first 2 shown]
	v_add_f16_e32 v45, v50, v44
	v_add_f16_e32 v52, v29, v46
	v_fma_f16 v54, v32, s17, v54
	v_add_f16_e32 v51, v41, v42
	v_add_f16_e32 v20, v17, v16
	;; [unrolled: 1-line block ×3, first 2 shown]
	v_sub_f16_e32 v16, v17, v16
	v_sub_f16_e32 v17, v23, v30
	v_pack_b32_f16 v22, v22, v56
	v_pack_b32_f16 v23, v40, v43
	v_add_f16_e32 v55, v48, v54
	v_sub_f16_e32 v19, v47, v19
	v_sub_f16_e32 v39, v49, v39
	ds_write2_b32 v7, v22, v23 offset1:160
	v_pack_b32_f16 v22, v45, v51
	v_pack_b32_f16 v20, v52, v20
	v_add_u32_e32 v23, 0x400, v7
	v_sub_f16_e32 v38, v53, v38
	v_sub_f16_e32 v44, v50, v44
	;; [unrolled: 1-line block ×4, first 2 shown]
	ds_write2_b32 v23, v22, v20 offset0:64 offset1:224
	v_pack_b32_f16 v20, v55, v32
	v_pack_b32_f16 v19, v19, v39
	v_add_u32_e32 v22, 0xa00, v7
	v_sub_f16_e32 v29, v29, v46
	v_sub_f16_e32 v46, v48, v54
	ds_write2_b32 v22, v20, v19 offset1:160
	v_pack_b32_f16 v18, v38, v18
	v_pack_b32_f16 v19, v44, v21
	v_add_u32_e32 v20, 0xe00, v7
	ds_write2_b32 v20, v18, v19 offset0:64 offset1:224
	v_pack_b32_f16 v16, v29, v16
	v_pack_b32_f16 v17, v46, v17
	v_add_u32_e32 v18, 0x1400, v7
	ds_write2_b32 v18, v16, v17 offset1:160
	s_and_saveexec_b64 s[4:5], vcc
	s_cbranch_execz .LBB0_25
; %bb.24:
	v_add_u32_e32 v16, 0x64, v6
	v_subrev_u32_e32 v17, 60, v6
	v_cndmask_b32_e32 v16, v17, v16, vcc
	v_mul_i32_i24_e32 v16, 9, v16
	v_mov_b32_e32 v17, 0
	v_lshl_add_u64 v[38:39], v[16:17], 2, s[8:9]
	global_load_dwordx4 v[16:19], v[38:39], off offset:600
	global_load_dwordx4 v[20:23], v[38:39], off offset:616
	global_load_dword v29, v[38:39], off offset:632
	s_waitcnt vmcnt(2)
	v_mul_f16_sdwa v30, v12, v17 dst_sel:DWORD dst_unused:UNUSED_PAD src0_sel:DWORD src1_sel:WORD_1
	v_mul_f16_sdwa v32, v14, v19 dst_sel:DWORD dst_unused:UNUSED_PAD src0_sel:DWORD src1_sel:WORD_1
	s_waitcnt vmcnt(1)
	v_mul_f16_sdwa v38, v8, v23 dst_sel:DWORD dst_unused:UNUSED_PAD src0_sel:DWORD src1_sel:WORD_1
	v_mul_f16_sdwa v39, v0, v21 dst_sel:DWORD dst_unused:UNUSED_PAD src0_sel:DWORD src1_sel:WORD_1
	;; [unrolled: 1-line block ×8, first 2 shown]
	s_waitcnt vmcnt(0)
	v_mul_f16_sdwa v46, v33, v29 dst_sel:DWORD dst_unused:UNUSED_PAD src0_sel:DWORD src1_sel:WORD_1
	v_mul_f16_sdwa v47, v25, v22 dst_sel:DWORD dst_unused:UNUSED_PAD src0_sel:DWORD src1_sel:WORD_1
	;; [unrolled: 1-line block ×6, first 2 shown]
	v_fma_f16 v30, v35, v17, -v30
	v_fma_f16 v32, v37, v19, -v32
	v_fma_f16 v34, v34, v23, -v38
	v_fma_f16 v27, v27, v21, -v39
	v_fma_f16 v12, v12, v17, v40
	v_fma_f16 v8, v8, v23, v41
	;; [unrolled: 1-line block ×8, first 2 shown]
	v_fma_f16 v17, v31, v18, -v49
	v_fma_f16 v18, v33, v29, -v50
	;; [unrolled: 1-line block ×4, first 2 shown]
	v_sub_f16_e32 v21, v30, v32
	v_sub_f16_e32 v22, v34, v27
	v_add_f16_e32 v23, v32, v27
	v_mul_f16_sdwa v48, v26, v16 dst_sel:DWORD dst_unused:UNUSED_PAD src0_sel:DWORD src1_sel:WORD_1
	v_mul_f16_sdwa v53, v11, v16 dst_sel:DWORD dst_unused:UNUSED_PAD src0_sel:DWORD src1_sel:WORD_1
	v_sub_f16_e32 v25, v12, v8
	v_sub_f16_e32 v29, v13, v15
	;; [unrolled: 1-line block ×7, first 2 shown]
	v_add_f16_e32 v21, v21, v22
	v_fma_f16 v22, v23, -0.5, v24
	v_sub_f16_e32 v50, v19, v17
	v_sub_f16_e32 v51, v20, v18
	v_fma_f16 v11, v11, v16, v48
	v_fma_f16 v16, v26, v16, -v53
	v_sub_f16_e32 v26, v14, v0
	v_add_f16_e32 v33, v15, v1
	v_add_f16_e32 v39, v19, v20
	;; [unrolled: 1-line block ×5, first 2 shown]
	v_fma_f16 v43, v25, s10, v22
	v_add_f16_e32 v50, v50, v51
	v_add_f16_e32 v51, v17, v18
	v_fma_f16 v22, v25, s13, v22
	v_sub_f16_e32 v35, v17, v18
	v_add_f16_e32 v44, v30, v34
	v_fma_f16 v29, v33, -0.5, v11
	v_fma_f16 v33, v39, -0.5, v16
	v_fma_f16 v43, v26, s11, v43
	v_fma_f16 v51, v51, -0.5, v16
	v_fma_f16 v22, v26, s14, v22
	v_add_f16_e32 v16, v16, v17
	v_sub_f16_e32 v36, v19, v20
	v_fma_f16 v38, v44, -0.5, v24
	v_fma_f16 v44, v35, s13, v29
	v_fma_f16 v43, v21, s12, v43
	v_fma_f16 v21, v21, s12, v22
	v_fma_f16 v22, v35, s10, v29
	v_add_f16_e32 v24, v24, v30
	v_add_f16_e32 v16, v16, v19
	v_sub_f16_e32 v40, v13, v9
	v_sub_f16_e32 v45, v15, v13
	;; [unrolled: 1-line block ×3, first 2 shown]
	v_fma_f16 v44, v36, s14, v44
	v_fma_f16 v22, v36, s11, v22
	v_add_f16_e32 v24, v24, v32
	v_add_f16_e32 v16, v16, v20
	;; [unrolled: 1-line block ×3, first 2 shown]
	v_fma_f16 v45, v40, s10, v33
	v_fma_f16 v44, v23, s12, v44
	;; [unrolled: 1-line block ×4, first 2 shown]
	v_add_f16_e32 v24, v24, v27
	v_add_f16_e32 v16, v16, v18
	v_sub_f16_e32 v18, v12, v14
	v_sub_f16_e32 v19, v8, v0
	;; [unrolled: 1-line block ×5, first 2 shown]
	v_add_f16_e32 v47, v13, v9
	v_fma_f16 v46, v26, s13, v38
	v_fma_f16 v38, v26, s10, v38
	v_add_f16_e32 v18, v18, v19
	v_add_f16_e32 v19, v14, v0
	;; [unrolled: 1-line block ×4, first 2 shown]
	v_fma_f16 v42, v47, -0.5, v11
	v_fma_f16 v46, v25, s11, v46
	v_fma_f16 v38, v25, s14, v38
	v_fma_f16 v19, v19, -0.5, v10
	v_fma_f16 v33, v33, -0.5, v10
	v_add_f16_e32 v10, v10, v12
	v_fma_f16 v47, v36, s10, v42
	v_fma_f16 v46, v37, s12, v46
	;; [unrolled: 1-line block ×4, first 2 shown]
	v_add_f16_e32 v10, v10, v14
	v_sub_f16_e32 v41, v15, v1
	v_fma_f16 v47, v35, s14, v47
	v_fma_f16 v38, v35, s11, v38
	v_sub_f16_e32 v20, v30, v34
	v_add_f16_e32 v0, v10, v0
	v_fma_f16 v47, v39, s12, v47
	v_fma_f16 v52, v41, s13, v51
	;; [unrolled: 1-line block ×7, first 2 shown]
	v_add_f16_e32 v0, v0, v8
	v_add_f16_e32 v8, v11, v13
	v_fma_f16 v52, v40, s11, v52
	v_fma_f16 v39, v40, s14, v39
	;; [unrolled: 1-line block ×3, first 2 shown]
	v_add_f16_e32 v24, v24, v34
	v_fma_f16 v29, v27, s14, v29
	v_fma_f16 v34, v27, s10, v33
	;; [unrolled: 1-line block ×4, first 2 shown]
	v_add_f16_e32 v8, v8, v15
	v_fma_f16 v45, v41, s11, v45
	v_fma_f16 v52, v50, s12, v52
	;; [unrolled: 1-line block ×3, first 2 shown]
	v_mul_f16_e32 v25, 0x3a79, v23
	v_fma_f16 v29, v18, s12, v29
	v_fma_f16 v34, v20, s14, v34
	;; [unrolled: 1-line block ×4, first 2 shown]
	v_mul_f16_e32 v19, 0xb8b4, v23
	v_add_f16_e32 v1, v8, v1
	v_fma_f16 v45, v31, s12, v45
	v_mul_f16_e32 v53, 0xb4f2, v52
	v_mul_f16_e32 v42, 0x34f2, v39
	v_fma_f16 v25, v22, s14, v25
	v_fma_f16 v34, v32, s12, v34
	v_mul_f16_e32 v35, 0xbb9c, v52
	v_fma_f16 v32, v32, s12, v33
	v_mul_f16_e32 v33, 0xbb9c, v39
	v_fma_f16 v19, v22, s15, v19
	v_add_f16_e32 v1, v1, v9
	v_mul_f16_e32 v48, 0xba79, v45
	v_fma_f16 v53, v47, s13, v53
	v_fma_f16 v42, v38, s13, v42
	v_mul_f16_e32 v30, 0xb8b4, v45
	v_fma_f16 v35, v47, s16, v35
	v_fma_f16 v33, v38, s12, v33
	v_sub_f16_e32 v20, v18, v19
	v_sub_f16_e32 v8, v0, v1
	v_add_f16_e32 v12, v21, v25
	v_add_f16_e32 v13, v24, v16
	;; [unrolled: 1-line block ×4, first 2 shown]
	v_fma_f16 v48, v44, s14, v48
	v_sub_f16_e32 v17, v24, v16
	v_fma_f16 v30, v44, s17, v30
	v_add_f16_e32 v10, v46, v53
	v_add_f16_e32 v11, v37, v42
	;; [unrolled: 1-line block ×4, first 2 shown]
	v_pack_b32_f16 v0, v0, v13
	v_pack_b32_f16 v1, v18, v12
	v_add_u32_e32 v12, 0x100, v7
	v_add_f16_e32 v9, v43, v48
	v_add_f16_e32 v14, v29, v30
	ds_write2_b32 v12, v0, v1 offset0:36 offset1:196
	v_pack_b32_f16 v0, v16, v11
	v_pack_b32_f16 v1, v15, v10
	v_add_u32_e32 v10, 0x600, v7
	v_sub_f16_e32 v50, v37, v42
	v_sub_f16_e32 v26, v21, v25
	;; [unrolled: 1-line block ×3, first 2 shown]
	ds_write2_b32 v10, v0, v1 offset0:36 offset1:196
	v_pack_b32_f16 v0, v14, v9
	v_pack_b32_f16 v1, v8, v17
	v_add_u32_e32 v8, 0xb00, v7
	v_sub_f16_e32 v49, v43, v48
	v_sub_f16_e32 v54, v46, v53
	v_sub_f16_e32 v31, v29, v30
	v_sub_f16_e32 v36, v34, v35
	ds_write2_b32 v8, v0, v1 offset0:36 offset1:196
	v_pack_b32_f16 v0, v20, v26
	v_pack_b32_f16 v1, v38, v50
	v_add_u32_e32 v8, 0x1000, v7
	ds_write2_b32 v8, v0, v1 offset0:36 offset1:196
	v_pack_b32_f16 v0, v36, v54
	v_pack_b32_f16 v1, v31, v49
	v_add_u32_e32 v7, 0x1500, v7
	ds_write2_b32 v7, v0, v1 offset0:36 offset1:196
.LBB0_25:
	s_or_b64 exec, exec, s[4:5]
	s_waitcnt lgkmcnt(0)
	s_barrier
	s_and_saveexec_b64 s[4:5], s[0:1]
	s_cbranch_execz .LBB0_27
; %bb.26:
	v_mul_lo_u32 v7, s3, v4
	v_mul_lo_u32 v5, s2, v5
	v_mad_u64_u32 v[0:1], s[0:1], s2, v4, 0
	v_lshl_add_u32 v10, v6, 2, v28
	v_add3_u32 v1, v1, v5, v7
	ds_read2_b32 v[4:5], v10 offset1:100
	v_lshl_add_u64 v[0:1], v[0:1], 2, s[6:7]
	v_mov_b32_e32 v7, 0
	v_lshl_add_u64 v[0:1], v[2:3], 2, v[0:1]
	v_lshl_add_u64 v[2:3], v[6:7], 2, v[0:1]
	s_waitcnt lgkmcnt(0)
	global_store_dword v[2:3], v4, off
	v_add_u32_e32 v4, 0x200, v10
	ds_read2_b32 v[8:9], v4 offset0:72 offset1:172
	v_add_u32_e32 v2, 0x64, v6
	v_mov_b32_e32 v3, v7
	v_lshl_add_u64 v[2:3], v[2:3], 2, v[0:1]
	global_store_dword v[2:3], v5, off
	v_add_u32_e32 v2, 0xc8, v6
	v_mov_b32_e32 v3, v7
	v_add_u32_e32 v4, 0x400, v10
	v_lshl_add_u64 v[2:3], v[2:3], 2, v[0:1]
	ds_read2_b32 v[4:5], v4 offset0:144 offset1:244
	s_waitcnt lgkmcnt(1)
	global_store_dword v[2:3], v8, off
	v_add_u32_e32 v2, 0x12c, v6
	v_mov_b32_e32 v3, v7
	v_lshl_add_u64 v[2:3], v[2:3], 2, v[0:1]
	global_store_dword v[2:3], v9, off
	v_add_u32_e32 v2, 0x190, v6
	v_mov_b32_e32 v3, v7
	v_lshl_add_u64 v[2:3], v[2:3], 2, v[0:1]
	s_waitcnt lgkmcnt(0)
	global_store_dword v[2:3], v4, off
	v_add_u32_e32 v4, 0x800, v10
	ds_read2_b32 v[8:9], v4 offset0:88 offset1:188
	v_add_u32_e32 v2, 0x1f4, v6
	v_mov_b32_e32 v3, v7
	v_lshl_add_u64 v[2:3], v[2:3], 2, v[0:1]
	global_store_dword v[2:3], v5, off
	v_add_u32_e32 v2, 0x258, v6
	v_mov_b32_e32 v3, v7
	v_add_u32_e32 v4, 0xc00, v10
	v_lshl_add_u64 v[2:3], v[2:3], 2, v[0:1]
	ds_read2_b32 v[4:5], v4 offset0:32 offset1:132
	s_waitcnt lgkmcnt(1)
	global_store_dword v[2:3], v8, off
	v_add_u32_e32 v2, 0x2bc, v6
	v_mov_b32_e32 v3, v7
	v_lshl_add_u64 v[2:3], v[2:3], 2, v[0:1]
	global_store_dword v[2:3], v9, off
	v_add_u32_e32 v2, 0x320, v6
	v_mov_b32_e32 v3, v7
	;; [unrolled: 22-line block ×3, first 2 shown]
	v_lshl_add_u64 v[2:3], v[2:3], 2, v[0:1]
	s_waitcnt lgkmcnt(0)
	global_store_dword v[2:3], v4, off
	v_add_u32_e32 v4, 0x1400, v10
	ds_read2_b32 v[8:9], v4 offset0:120 offset1:220
	v_add_u32_e32 v2, 0x514, v6
	v_mov_b32_e32 v3, v7
	v_lshl_add_u64 v[2:3], v[2:3], 2, v[0:1]
	global_store_dword v[2:3], v5, off
	v_add_u32_e32 v2, 0x578, v6
	v_mov_b32_e32 v3, v7
	v_add_u32_e32 v6, 0x5dc, v6
	v_lshl_add_u64 v[2:3], v[2:3], 2, v[0:1]
	v_lshl_add_u64 v[0:1], v[6:7], 2, v[0:1]
	s_waitcnt lgkmcnt(0)
	global_store_dword v[2:3], v8, off
	global_store_dword v[0:1], v9, off
.LBB0_27:
	s_endpgm
	.section	.rodata,"a",@progbits
	.p2align	6, 0x0
	.amdhsa_kernel fft_rtc_back_len1600_factors_10_16_10_wgs_200_tpt_100_halfLds_half_op_CI_CI_unitstride_sbrr_C2R_dirReg
		.amdhsa_group_segment_fixed_size 0
		.amdhsa_private_segment_fixed_size 0
		.amdhsa_kernarg_size 104
		.amdhsa_user_sgpr_count 2
		.amdhsa_user_sgpr_dispatch_ptr 0
		.amdhsa_user_sgpr_queue_ptr 0
		.amdhsa_user_sgpr_kernarg_segment_ptr 1
		.amdhsa_user_sgpr_dispatch_id 0
		.amdhsa_user_sgpr_kernarg_preload_length 0
		.amdhsa_user_sgpr_kernarg_preload_offset 0
		.amdhsa_user_sgpr_private_segment_size 0
		.amdhsa_uses_dynamic_stack 0
		.amdhsa_enable_private_segment 0
		.amdhsa_system_sgpr_workgroup_id_x 1
		.amdhsa_system_sgpr_workgroup_id_y 0
		.amdhsa_system_sgpr_workgroup_id_z 0
		.amdhsa_system_sgpr_workgroup_info 0
		.amdhsa_system_vgpr_workitem_id 0
		.amdhsa_next_free_vgpr 88
		.amdhsa_next_free_sgpr 28
		.amdhsa_accum_offset 88
		.amdhsa_reserve_vcc 1
		.amdhsa_float_round_mode_32 0
		.amdhsa_float_round_mode_16_64 0
		.amdhsa_float_denorm_mode_32 3
		.amdhsa_float_denorm_mode_16_64 3
		.amdhsa_dx10_clamp 1
		.amdhsa_ieee_mode 1
		.amdhsa_fp16_overflow 0
		.amdhsa_tg_split 0
		.amdhsa_exception_fp_ieee_invalid_op 0
		.amdhsa_exception_fp_denorm_src 0
		.amdhsa_exception_fp_ieee_div_zero 0
		.amdhsa_exception_fp_ieee_overflow 0
		.amdhsa_exception_fp_ieee_underflow 0
		.amdhsa_exception_fp_ieee_inexact 0
		.amdhsa_exception_int_div_zero 0
	.end_amdhsa_kernel
	.text
.Lfunc_end0:
	.size	fft_rtc_back_len1600_factors_10_16_10_wgs_200_tpt_100_halfLds_half_op_CI_CI_unitstride_sbrr_C2R_dirReg, .Lfunc_end0-fft_rtc_back_len1600_factors_10_16_10_wgs_200_tpt_100_halfLds_half_op_CI_CI_unitstride_sbrr_C2R_dirReg
                                        ; -- End function
	.section	.AMDGPU.csdata,"",@progbits
; Kernel info:
; codeLenInByte = 11348
; NumSgprs: 34
; NumVgprs: 88
; NumAgprs: 0
; TotalNumVgprs: 88
; ScratchSize: 0
; MemoryBound: 0
; FloatMode: 240
; IeeeMode: 1
; LDSByteSize: 0 bytes/workgroup (compile time only)
; SGPRBlocks: 4
; VGPRBlocks: 10
; NumSGPRsForWavesPerEU: 34
; NumVGPRsForWavesPerEU: 88
; AccumOffset: 88
; Occupancy: 5
; WaveLimiterHint : 1
; COMPUTE_PGM_RSRC2:SCRATCH_EN: 0
; COMPUTE_PGM_RSRC2:USER_SGPR: 2
; COMPUTE_PGM_RSRC2:TRAP_HANDLER: 0
; COMPUTE_PGM_RSRC2:TGID_X_EN: 1
; COMPUTE_PGM_RSRC2:TGID_Y_EN: 0
; COMPUTE_PGM_RSRC2:TGID_Z_EN: 0
; COMPUTE_PGM_RSRC2:TIDIG_COMP_CNT: 0
; COMPUTE_PGM_RSRC3_GFX90A:ACCUM_OFFSET: 21
; COMPUTE_PGM_RSRC3_GFX90A:TG_SPLIT: 0
	.text
	.p2alignl 6, 3212836864
	.fill 256, 4, 3212836864
	.type	__hip_cuid_3709d68be84fff45,@object ; @__hip_cuid_3709d68be84fff45
	.section	.bss,"aw",@nobits
	.globl	__hip_cuid_3709d68be84fff45
__hip_cuid_3709d68be84fff45:
	.byte	0                               ; 0x0
	.size	__hip_cuid_3709d68be84fff45, 1

	.ident	"AMD clang version 19.0.0git (https://github.com/RadeonOpenCompute/llvm-project roc-6.4.0 25133 c7fe45cf4b819c5991fe208aaa96edf142730f1d)"
	.section	".note.GNU-stack","",@progbits
	.addrsig
	.addrsig_sym __hip_cuid_3709d68be84fff45
	.amdgpu_metadata
---
amdhsa.kernels:
  - .agpr_count:     0
    .args:
      - .actual_access:  read_only
        .address_space:  global
        .offset:         0
        .size:           8
        .value_kind:     global_buffer
      - .offset:         8
        .size:           8
        .value_kind:     by_value
      - .actual_access:  read_only
        .address_space:  global
        .offset:         16
        .size:           8
        .value_kind:     global_buffer
      - .actual_access:  read_only
        .address_space:  global
        .offset:         24
        .size:           8
        .value_kind:     global_buffer
      - .actual_access:  read_only
        .address_space:  global
        .offset:         32
        .size:           8
        .value_kind:     global_buffer
      - .offset:         40
        .size:           8
        .value_kind:     by_value
      - .actual_access:  read_only
        .address_space:  global
        .offset:         48
        .size:           8
        .value_kind:     global_buffer
      - .actual_access:  read_only
        .address_space:  global
        .offset:         56
        .size:           8
        .value_kind:     global_buffer
      - .offset:         64
        .size:           4
        .value_kind:     by_value
      - .actual_access:  read_only
        .address_space:  global
        .offset:         72
        .size:           8
        .value_kind:     global_buffer
      - .actual_access:  read_only
        .address_space:  global
        .offset:         80
        .size:           8
        .value_kind:     global_buffer
      - .actual_access:  read_only
        .address_space:  global
        .offset:         88
        .size:           8
        .value_kind:     global_buffer
      - .actual_access:  write_only
        .address_space:  global
        .offset:         96
        .size:           8
        .value_kind:     global_buffer
    .group_segment_fixed_size: 0
    .kernarg_segment_align: 8
    .kernarg_segment_size: 104
    .language:       OpenCL C
    .language_version:
      - 2
      - 0
    .max_flat_workgroup_size: 200
    .name:           fft_rtc_back_len1600_factors_10_16_10_wgs_200_tpt_100_halfLds_half_op_CI_CI_unitstride_sbrr_C2R_dirReg
    .private_segment_fixed_size: 0
    .sgpr_count:     34
    .sgpr_spill_count: 0
    .symbol:         fft_rtc_back_len1600_factors_10_16_10_wgs_200_tpt_100_halfLds_half_op_CI_CI_unitstride_sbrr_C2R_dirReg.kd
    .uniform_work_group_size: 1
    .uses_dynamic_stack: false
    .vgpr_count:     88
    .vgpr_spill_count: 0
    .wavefront_size: 64
amdhsa.target:   amdgcn-amd-amdhsa--gfx950
amdhsa.version:
  - 1
  - 2
...

	.end_amdgpu_metadata
